;; amdgpu-corpus repo=ROCm/rocFFT kind=compiled arch=gfx906 opt=O3
	.text
	.amdgcn_target "amdgcn-amd-amdhsa--gfx906"
	.amdhsa_code_object_version 6
	.protected	fft_rtc_back_len1620_factors_10_3_3_6_3_wgs_162_tpt_162_halfLds_half_op_CI_CI_unitstride_sbrr_C2R_dirReg ; -- Begin function fft_rtc_back_len1620_factors_10_3_3_6_3_wgs_162_tpt_162_halfLds_half_op_CI_CI_unitstride_sbrr_C2R_dirReg
	.globl	fft_rtc_back_len1620_factors_10_3_3_6_3_wgs_162_tpt_162_halfLds_half_op_CI_CI_unitstride_sbrr_C2R_dirReg
	.p2align	8
	.type	fft_rtc_back_len1620_factors_10_3_3_6_3_wgs_162_tpt_162_halfLds_half_op_CI_CI_unitstride_sbrr_C2R_dirReg,@function
fft_rtc_back_len1620_factors_10_3_3_6_3_wgs_162_tpt_162_halfLds_half_op_CI_CI_unitstride_sbrr_C2R_dirReg: ; @fft_rtc_back_len1620_factors_10_3_3_6_3_wgs_162_tpt_162_halfLds_half_op_CI_CI_unitstride_sbrr_C2R_dirReg
; %bb.0:
	s_load_dwordx4 s[8:11], s[4:5], 0x58
	s_load_dwordx4 s[12:15], s[4:5], 0x0
	;; [unrolled: 1-line block ×3, first 2 shown]
	v_mul_u32_u24_e32 v1, 0x195, v0
	v_mov_b32_e32 v8, 0
	v_mov_b32_e32 v6, 0
	s_waitcnt lgkmcnt(0)
	v_cmp_lt_u64_e64 s[0:1], s[14:15], 2
	v_add_u32_sdwa v10, s6, v1 dst_sel:DWORD dst_unused:UNUSED_PAD src0_sel:DWORD src1_sel:WORD_1
	v_mov_b32_e32 v11, v8
	s_and_b64 vcc, exec, s[0:1]
	v_mov_b32_e32 v7, 0
	s_cbranch_vccnz .LBB0_8
; %bb.1:
	s_load_dwordx2 s[0:1], s[4:5], 0x10
	s_add_u32 s2, s18, 8
	s_addc_u32 s3, s19, 0
	s_add_u32 s6, s16, 8
	s_addc_u32 s7, s17, 0
	v_mov_b32_e32 v6, 0
	s_waitcnt lgkmcnt(0)
	s_add_u32 s20, s0, 8
	v_mov_b32_e32 v7, 0
	v_mov_b32_e32 v1, v6
	s_addc_u32 s21, s1, 0
	s_mov_b64 s[22:23], 1
	v_mov_b32_e32 v2, v7
.LBB0_2:                                ; =>This Inner Loop Header: Depth=1
	s_load_dwordx2 s[24:25], s[20:21], 0x0
                                        ; implicit-def: $vgpr3_vgpr4
	s_waitcnt lgkmcnt(0)
	v_or_b32_e32 v9, s25, v11
	v_cmp_ne_u64_e32 vcc, 0, v[8:9]
	s_and_saveexec_b64 s[0:1], vcc
	s_xor_b64 s[26:27], exec, s[0:1]
	s_cbranch_execz .LBB0_4
; %bb.3:                                ;   in Loop: Header=BB0_2 Depth=1
	v_cvt_f32_u32_e32 v3, s24
	v_cvt_f32_u32_e32 v4, s25
	s_sub_u32 s0, 0, s24
	s_subb_u32 s1, 0, s25
	v_mac_f32_e32 v3, 0x4f800000, v4
	v_rcp_f32_e32 v3, v3
	v_mul_f32_e32 v3, 0x5f7ffffc, v3
	v_mul_f32_e32 v4, 0x2f800000, v3
	v_trunc_f32_e32 v4, v4
	v_mac_f32_e32 v3, 0xcf800000, v4
	v_cvt_u32_f32_e32 v4, v4
	v_cvt_u32_f32_e32 v3, v3
	v_mul_lo_u32 v5, s0, v4
	v_mul_hi_u32 v9, s0, v3
	v_mul_lo_u32 v13, s1, v3
	v_mul_lo_u32 v12, s0, v3
	v_add_u32_e32 v5, v9, v5
	v_add_u32_e32 v5, v5, v13
	v_mul_hi_u32 v9, v3, v12
	v_mul_lo_u32 v13, v3, v5
	v_mul_hi_u32 v15, v3, v5
	v_mul_hi_u32 v14, v4, v12
	v_mul_lo_u32 v12, v4, v12
	v_mul_hi_u32 v16, v4, v5
	v_add_co_u32_e32 v9, vcc, v9, v13
	v_addc_co_u32_e32 v13, vcc, 0, v15, vcc
	v_mul_lo_u32 v5, v4, v5
	v_add_co_u32_e32 v9, vcc, v9, v12
	v_addc_co_u32_e32 v9, vcc, v13, v14, vcc
	v_addc_co_u32_e32 v12, vcc, 0, v16, vcc
	v_add_co_u32_e32 v5, vcc, v9, v5
	v_addc_co_u32_e32 v9, vcc, 0, v12, vcc
	v_add_co_u32_e32 v3, vcc, v3, v5
	v_addc_co_u32_e32 v4, vcc, v4, v9, vcc
	v_mul_lo_u32 v5, s0, v4
	v_mul_hi_u32 v9, s0, v3
	v_mul_lo_u32 v12, s1, v3
	v_mul_lo_u32 v13, s0, v3
	v_add_u32_e32 v5, v9, v5
	v_add_u32_e32 v5, v5, v12
	v_mul_lo_u32 v14, v3, v5
	v_mul_hi_u32 v15, v3, v13
	v_mul_hi_u32 v16, v3, v5
	v_mul_hi_u32 v12, v4, v13
	v_mul_lo_u32 v13, v4, v13
	v_mul_hi_u32 v9, v4, v5
	v_add_co_u32_e32 v14, vcc, v15, v14
	v_addc_co_u32_e32 v15, vcc, 0, v16, vcc
	v_mul_lo_u32 v5, v4, v5
	v_add_co_u32_e32 v13, vcc, v14, v13
	v_addc_co_u32_e32 v12, vcc, v15, v12, vcc
	v_addc_co_u32_e32 v9, vcc, 0, v9, vcc
	v_add_co_u32_e32 v5, vcc, v12, v5
	v_addc_co_u32_e32 v9, vcc, 0, v9, vcc
	v_add_co_u32_e32 v5, vcc, v3, v5
	v_addc_co_u32_e32 v9, vcc, v4, v9, vcc
	v_mad_u64_u32 v[3:4], s[0:1], v10, v9, 0
	v_mul_hi_u32 v12, v10, v5
	v_add_co_u32_e32 v14, vcc, v12, v3
	v_addc_co_u32_e32 v15, vcc, 0, v4, vcc
	v_mad_u64_u32 v[3:4], s[0:1], v11, v5, 0
	v_mad_u64_u32 v[12:13], s[0:1], v11, v9, 0
	v_add_co_u32_e32 v3, vcc, v14, v3
	v_addc_co_u32_e32 v3, vcc, v15, v4, vcc
	v_addc_co_u32_e32 v4, vcc, 0, v13, vcc
	v_add_co_u32_e32 v5, vcc, v3, v12
	v_addc_co_u32_e32 v9, vcc, 0, v4, vcc
	v_mul_lo_u32 v12, s25, v5
	v_mul_lo_u32 v13, s24, v9
	v_mad_u64_u32 v[3:4], s[0:1], s24, v5, 0
	v_add3_u32 v4, v4, v13, v12
	v_sub_u32_e32 v12, v11, v4
	v_mov_b32_e32 v13, s25
	v_sub_co_u32_e32 v3, vcc, v10, v3
	v_subb_co_u32_e64 v12, s[0:1], v12, v13, vcc
	v_subrev_co_u32_e64 v13, s[0:1], s24, v3
	v_subbrev_co_u32_e64 v12, s[0:1], 0, v12, s[0:1]
	v_cmp_le_u32_e64 s[0:1], s25, v12
	v_cndmask_b32_e64 v14, 0, -1, s[0:1]
	v_cmp_le_u32_e64 s[0:1], s24, v13
	v_cndmask_b32_e64 v13, 0, -1, s[0:1]
	v_cmp_eq_u32_e64 s[0:1], s25, v12
	v_cndmask_b32_e64 v12, v14, v13, s[0:1]
	v_add_co_u32_e64 v13, s[0:1], 2, v5
	v_addc_co_u32_e64 v14, s[0:1], 0, v9, s[0:1]
	v_add_co_u32_e64 v15, s[0:1], 1, v5
	v_addc_co_u32_e64 v16, s[0:1], 0, v9, s[0:1]
	v_subb_co_u32_e32 v4, vcc, v11, v4, vcc
	v_cmp_ne_u32_e64 s[0:1], 0, v12
	v_cmp_le_u32_e32 vcc, s25, v4
	v_cndmask_b32_e64 v12, v16, v14, s[0:1]
	v_cndmask_b32_e64 v14, 0, -1, vcc
	v_cmp_le_u32_e32 vcc, s24, v3
	v_cndmask_b32_e64 v3, 0, -1, vcc
	v_cmp_eq_u32_e32 vcc, s25, v4
	v_cndmask_b32_e32 v3, v14, v3, vcc
	v_cmp_ne_u32_e32 vcc, 0, v3
	v_cndmask_b32_e64 v3, v15, v13, s[0:1]
	v_cndmask_b32_e32 v4, v9, v12, vcc
	v_cndmask_b32_e32 v3, v5, v3, vcc
.LBB0_4:                                ;   in Loop: Header=BB0_2 Depth=1
	s_andn2_saveexec_b64 s[0:1], s[26:27]
	s_cbranch_execz .LBB0_6
; %bb.5:                                ;   in Loop: Header=BB0_2 Depth=1
	v_cvt_f32_u32_e32 v3, s24
	s_sub_i32 s26, 0, s24
	v_rcp_iflag_f32_e32 v3, v3
	v_mul_f32_e32 v3, 0x4f7ffffe, v3
	v_cvt_u32_f32_e32 v3, v3
	v_mul_lo_u32 v4, s26, v3
	v_mul_hi_u32 v4, v3, v4
	v_add_u32_e32 v3, v3, v4
	v_mul_hi_u32 v3, v10, v3
	v_mul_lo_u32 v4, v3, s24
	v_add_u32_e32 v5, 1, v3
	v_sub_u32_e32 v4, v10, v4
	v_subrev_u32_e32 v9, s24, v4
	v_cmp_le_u32_e32 vcc, s24, v4
	v_cndmask_b32_e32 v4, v4, v9, vcc
	v_cndmask_b32_e32 v3, v3, v5, vcc
	v_add_u32_e32 v5, 1, v3
	v_cmp_le_u32_e32 vcc, s24, v4
	v_cndmask_b32_e32 v3, v3, v5, vcc
	v_mov_b32_e32 v4, v8
.LBB0_6:                                ;   in Loop: Header=BB0_2 Depth=1
	s_or_b64 exec, exec, s[0:1]
	v_mul_lo_u32 v5, v4, s24
	v_mul_lo_u32 v9, v3, s25
	v_mad_u64_u32 v[12:13], s[0:1], v3, s24, 0
	s_load_dwordx2 s[0:1], s[6:7], 0x0
	s_load_dwordx2 s[24:25], s[2:3], 0x0
	v_add3_u32 v5, v13, v9, v5
	v_sub_co_u32_e32 v9, vcc, v10, v12
	v_subb_co_u32_e32 v5, vcc, v11, v5, vcc
	s_waitcnt lgkmcnt(0)
	v_mul_lo_u32 v10, s0, v5
	v_mul_lo_u32 v11, s1, v9
	v_mad_u64_u32 v[6:7], s[0:1], s0, v9, v[6:7]
	s_add_u32 s22, s22, 1
	s_addc_u32 s23, s23, 0
	s_add_u32 s2, s2, 8
	v_mul_lo_u32 v5, s24, v5
	v_mul_lo_u32 v12, s25, v9
	v_mad_u64_u32 v[1:2], s[0:1], s24, v9, v[1:2]
	v_add3_u32 v7, v11, v7, v10
	s_addc_u32 s3, s3, 0
	v_mov_b32_e32 v9, s14
	s_add_u32 s6, s6, 8
	v_mov_b32_e32 v10, s15
	s_addc_u32 s7, s7, 0
	v_cmp_ge_u64_e32 vcc, s[22:23], v[9:10]
	s_add_u32 s20, s20, 8
	v_add3_u32 v2, v12, v2, v5
	s_addc_u32 s21, s21, 0
	s_cbranch_vccnz .LBB0_9
; %bb.7:                                ;   in Loop: Header=BB0_2 Depth=1
	v_mov_b32_e32 v11, v4
	v_mov_b32_e32 v10, v3
	s_branch .LBB0_2
.LBB0_8:
	v_mov_b32_e32 v1, v6
	v_mov_b32_e32 v3, v10
	;; [unrolled: 1-line block ×4, first 2 shown]
.LBB0_9:
	s_load_dwordx2 s[2:3], s[4:5], 0x28
	s_lshl_b64 s[4:5], s[14:15], 3
	s_add_u32 s6, s18, s4
	s_addc_u32 s7, s19, s5
                                        ; implicit-def: $vgpr5
	s_waitcnt lgkmcnt(0)
	v_cmp_gt_u64_e64 s[0:1], s[2:3], v[3:4]
	v_cmp_le_u64_e32 vcc, s[2:3], v[3:4]
	s_and_saveexec_b64 s[2:3], vcc
	s_xor_b64 s[2:3], exec, s[2:3]
; %bb.10:
	s_mov_b32 s14, 0x1948b10
	v_mul_hi_u32 v5, v0, s14
                                        ; implicit-def: $vgpr6_vgpr7
	v_mul_u32_u24_e32 v5, 0xa2, v5
	v_sub_u32_e32 v5, v0, v5
                                        ; implicit-def: $vgpr0
; %bb.11:
	s_or_saveexec_b64 s[2:3], s[2:3]
	s_load_dwordx2 s[6:7], s[6:7], 0x0
	s_xor_b64 exec, exec, s[2:3]
	s_cbranch_execz .LBB0_15
; %bb.12:
	s_add_u32 s4, s16, s4
	s_addc_u32 s5, s17, s5
	s_load_dwordx2 s[4:5], s[4:5], 0x0
	s_mov_b32 s14, 0x1948b10
	v_mul_hi_u32 v5, v0, s14
	v_lshlrev_b64 v[6:7], 2, v[6:7]
	s_waitcnt lgkmcnt(0)
	v_mul_lo_u32 v10, s5, v3
	v_mul_lo_u32 v11, s4, v4
	v_mad_u64_u32 v[8:9], s[4:5], s4, v3, 0
	v_mul_u32_u24_e32 v5, 0xa2, v5
	v_sub_u32_e32 v5, v0, v5
	v_add3_u32 v9, v9, v11, v10
	v_lshlrev_b64 v[8:9], 2, v[8:9]
	v_mov_b32_e32 v0, s9
	v_add_co_u32_e32 v8, vcc, s8, v8
	v_addc_co_u32_e32 v0, vcc, v0, v9, vcc
	v_add_co_u32_e32 v6, vcc, v8, v6
	v_addc_co_u32_e32 v0, vcc, v0, v7, vcc
	v_lshlrev_b32_e32 v11, 2, v5
	v_add_co_u32_e32 v7, vcc, v6, v11
	v_addc_co_u32_e32 v8, vcc, 0, v0, vcc
	v_add_co_u32_e32 v9, vcc, 0x1000, v7
	v_addc_co_u32_e32 v10, vcc, 0, v8, vcc
	global_load_dword v12, v[7:8], off
	global_load_dword v13, v[7:8], off offset:648
	global_load_dword v14, v[7:8], off offset:1296
	;; [unrolled: 1-line block ×9, first 2 shown]
	s_movk_i32 s4, 0xa1
	v_add_u32_e32 v7, 0, v11
	v_cmp_eq_u32_e32 vcc, s4, v5
	v_add_u32_e32 v8, 0x400, v7
	v_add_u32_e32 v9, 0xa00, v7
	;; [unrolled: 1-line block ×4, first 2 shown]
	s_waitcnt vmcnt(8)
	ds_write2_b32 v7, v12, v13 offset1:162
	s_waitcnt vmcnt(6)
	ds_write2_b32 v8, v14, v15 offset0:68 offset1:230
	s_waitcnt vmcnt(4)
	ds_write2_b32 v9, v16, v17 offset0:8 offset1:170
	;; [unrolled: 2-line block ×4, first 2 shown]
	s_and_saveexec_b64 s[4:5], vcc
	s_cbranch_execz .LBB0_14
; %bb.13:
	v_add_co_u32_e32 v5, vcc, 0x1000, v6
	v_addc_co_u32_e32 v6, vcc, 0, v0, vcc
	global_load_dword v0, v[5:6], off offset:2384
	v_mov_b32_e32 v5, 0
	s_waitcnt vmcnt(0)
	ds_write_b32 v5, v0 offset:6480
	v_mov_b32_e32 v5, 0xa1
.LBB0_14:
	s_or_b64 exec, exec, s[4:5]
.LBB0_15:
	s_or_b64 exec, exec, s[2:3]
	v_lshlrev_b32_e32 v6, 2, v5
	v_add_u32_e32 v0, 0, v6
	s_waitcnt lgkmcnt(0)
	s_barrier
	v_sub_u32_e32 v8, 0, v6
	ds_read_u16 v11, v0
	ds_read_u16 v12, v8 offset:6480
	s_add_u32 s4, s12, 0x1928
	s_addc_u32 s5, s13, 0
	v_cmp_ne_u32_e32 vcc, 0, v5
                                        ; implicit-def: $vgpr6_vgpr7
	s_waitcnt lgkmcnt(0)
	v_add_f16_e32 v9, v12, v11
	v_sub_f16_e32 v10, v11, v12
	s_and_saveexec_b64 s[2:3], vcc
	s_xor_b64 s[2:3], exec, s[2:3]
	s_cbranch_execz .LBB0_17
; %bb.16:
	v_mov_b32_e32 v6, 0
	v_lshlrev_b64 v[9:10], 2, v[5:6]
	v_mov_b32_e32 v7, s5
	v_add_co_u32_e32 v9, vcc, s4, v9
	v_addc_co_u32_e32 v10, vcc, v7, v10, vcc
	global_load_dword v7, v[9:10], off
	ds_read_u16 v9, v8 offset:6482
	ds_read_u16 v10, v0 offset:2
	v_add_f16_e32 v13, v12, v11
	v_sub_f16_e32 v11, v11, v12
	s_waitcnt lgkmcnt(0)
	v_add_f16_e32 v12, v9, v10
	v_sub_f16_e32 v9, v10, v9
	s_waitcnt vmcnt(0)
	v_lshrrev_b32_e32 v10, 16, v7
	v_fma_f16 v14, v11, v10, v13
	v_fma_f16 v15, v12, v10, v9
	v_fma_f16 v13, -v11, v10, v13
	v_fma_f16 v16, v12, v10, -v9
	v_fma_f16 v9, -v7, v12, v14
	v_fma_f16 v10, v11, v7, v15
	v_fma_f16 v12, v7, v12, v13
	;; [unrolled: 1-line block ×3, first 2 shown]
	v_pack_b32_f16 v7, v12, v7
	ds_write_b32 v8, v7 offset:6480
	v_mov_b32_e32 v7, v6
	v_mov_b32_e32 v6, v5
.LBB0_17:
	s_andn2_saveexec_b64 s[2:3], s[2:3]
	s_cbranch_execz .LBB0_19
; %bb.18:
	v_mov_b32_e32 v11, 0
	ds_read_b32 v6, v11 offset:3240
	s_mov_b32 s8, 0xc0004000
	s_waitcnt lgkmcnt(0)
	v_pk_mul_f16 v12, v6, s8
	v_mov_b32_e32 v6, 0
	v_mov_b32_e32 v7, 0
	ds_write_b32 v11, v12 offset:3240
.LBB0_19:
	s_or_b64 exec, exec, s[2:3]
	v_lshlrev_b64 v[6:7], 2, v[6:7]
	v_mov_b32_e32 v11, s5
	v_add_co_u32_e32 v6, vcc, s4, v6
	v_addc_co_u32_e32 v7, vcc, v11, v7, vcc
	global_load_dword v11, v[6:7], off offset:648
	global_load_dword v12, v[6:7], off offset:1296
	;; [unrolled: 1-line block ×4, first 2 shown]
	s_mov_b32 s2, 0x5040100
	v_perm_b32 v6, v10, v9, s2
	ds_write_b32 v0, v6
	ds_read_b32 v6, v0 offset:648
	ds_read_b32 v7, v8 offset:5832
	s_movk_i32 s5, 0x3b9c
	s_mov_b32 s2, 0xbb9c
	s_movk_i32 s8, 0x38b4
	s_mov_b32 s3, 0xb8b4
	s_waitcnt lgkmcnt(0)
	v_add_f16_e32 v9, v6, v7
	v_add_f16_sdwa v10, v7, v6 dst_sel:DWORD dst_unused:UNUSED_PAD src0_sel:WORD_1 src1_sel:WORD_1
	v_sub_f16_e32 v15, v6, v7
	v_sub_f16_sdwa v6, v6, v7 dst_sel:DWORD dst_unused:UNUSED_PAD src0_sel:WORD_1 src1_sel:WORD_1
	s_movk_i32 s4, 0x34f2
	s_movk_i32 s9, 0x3a79
	v_cmp_gt_u32_e32 vcc, 54, v5
	s_waitcnt vmcnt(3)
	v_lshrrev_b32_e32 v7, 16, v11
	v_fma_f16 v16, v15, v7, v9
	v_fma_f16 v17, v10, v7, v6
	v_fma_f16 v9, -v15, v7, v9
	v_fma_f16 v6, v10, v7, -v6
	v_fma_f16 v7, -v11, v10, v16
	v_fma_f16 v16, v15, v11, v17
	v_fma_f16 v9, v11, v10, v9
	v_fma_f16 v6, v15, v11, v6
	v_pack_b32_f16 v7, v7, v16
	v_pack_b32_f16 v6, v9, v6
	ds_write_b32 v0, v7 offset:648
	ds_write_b32 v8, v6 offset:5832
	ds_read_b32 v6, v0 offset:1296
	ds_read_b32 v7, v8 offset:5184
	s_waitcnt vmcnt(2)
	v_lshrrev_b32_e32 v9, 16, v12
	s_waitcnt lgkmcnt(0)
	v_add_f16_e32 v10, v6, v7
	v_add_f16_sdwa v11, v7, v6 dst_sel:DWORD dst_unused:UNUSED_PAD src0_sel:WORD_1 src1_sel:WORD_1
	v_sub_f16_e32 v15, v6, v7
	v_sub_f16_sdwa v6, v6, v7 dst_sel:DWORD dst_unused:UNUSED_PAD src0_sel:WORD_1 src1_sel:WORD_1
	v_fma_f16 v7, v15, v9, v10
	v_fma_f16 v16, v11, v9, v6
	v_fma_f16 v10, -v15, v9, v10
	v_fma_f16 v6, v11, v9, -v6
	v_fma_f16 v7, -v12, v11, v7
	v_fma_f16 v9, v15, v12, v16
	v_fma_f16 v10, v12, v11, v10
	;; [unrolled: 1-line block ×3, first 2 shown]
	v_pack_b32_f16 v7, v7, v9
	v_pack_b32_f16 v6, v10, v6
	ds_write_b32 v0, v7 offset:1296
	ds_write_b32 v8, v6 offset:5184
	ds_read_b32 v6, v0 offset:1944
	ds_read_b32 v7, v8 offset:4536
	s_waitcnt vmcnt(1)
	v_lshrrev_b32_e32 v9, 16, v13
	v_add_u32_e32 v16, 0xa00, v0
	s_waitcnt lgkmcnt(0)
	v_add_f16_e32 v10, v6, v7
	v_add_f16_sdwa v11, v7, v6 dst_sel:DWORD dst_unused:UNUSED_PAD src0_sel:WORD_1 src1_sel:WORD_1
	v_sub_f16_e32 v12, v6, v7
	v_sub_f16_sdwa v6, v6, v7 dst_sel:DWORD dst_unused:UNUSED_PAD src0_sel:WORD_1 src1_sel:WORD_1
	v_fma_f16 v7, v12, v9, v10
	v_fma_f16 v15, v11, v9, v6
	v_fma_f16 v10, -v12, v9, v10
	v_fma_f16 v6, v11, v9, -v6
	v_fma_f16 v7, -v13, v11, v7
	v_fma_f16 v9, v12, v13, v15
	v_fma_f16 v10, v13, v11, v10
	v_fma_f16 v6, v12, v13, v6
	v_pack_b32_f16 v7, v7, v9
	v_pack_b32_f16 v6, v10, v6
	ds_write_b32 v0, v7 offset:1944
	ds_write_b32 v8, v6 offset:4536
	ds_read_b32 v6, v0 offset:2592
	ds_read_b32 v7, v8 offset:3888
	s_waitcnt vmcnt(0)
	v_lshrrev_b32_e32 v11, 16, v14
	v_add_u32_e32 v9, 0xe00, v0
	v_add_u32_e32 v10, 0x400, v0
	s_waitcnt lgkmcnt(0)
	v_add_f16_e32 v12, v6, v7
	v_add_f16_sdwa v13, v7, v6 dst_sel:DWORD dst_unused:UNUSED_PAD src0_sel:WORD_1 src1_sel:WORD_1
	v_sub_f16_e32 v15, v6, v7
	v_sub_f16_sdwa v6, v6, v7 dst_sel:DWORD dst_unused:UNUSED_PAD src0_sel:WORD_1 src1_sel:WORD_1
	v_fma_f16 v7, v15, v11, v12
	v_fma_f16 v17, v13, v11, v6
	v_fma_f16 v12, -v15, v11, v12
	v_fma_f16 v6, v13, v11, -v6
	v_fma_f16 v7, -v14, v13, v7
	v_fma_f16 v11, v15, v14, v17
	v_fma_f16 v12, v14, v13, v12
	;; [unrolled: 1-line block ×3, first 2 shown]
	v_pack_b32_f16 v7, v7, v11
	v_pack_b32_f16 v6, v12, v6
	v_add_u32_e32 v14, 0x1400, v0
	ds_write_b32 v0, v7 offset:2592
	ds_write_b32 v8, v6 offset:3888
	s_waitcnt lgkmcnt(0)
	s_barrier
	s_barrier
	ds_read2_b32 v[6:7], v16 offset0:8 offset1:170
	ds_read2_b32 v[8:9], v9 offset0:76 offset1:238
	;; [unrolled: 1-line block ×3, first 2 shown]
	ds_read2_b32 v[12:13], v0 offset1:162
	ds_read2_b32 v[14:15], v14 offset0:16 offset1:178
	s_waitcnt lgkmcnt(0)
	s_barrier
	v_sub_f16_e32 v29, v11, v7
	v_pk_add_f16 v24, v13, v11
	v_add_f16_e32 v27, v7, v9
	v_sub_f16_sdwa v28, v7, v9 dst_sel:DWORD dst_unused:UNUSED_PAD src0_sel:WORD_1 src1_sel:WORD_1
	v_sub_f16_e32 v30, v7, v11
	v_add_f16_sdwa v31, v7, v9 dst_sel:DWORD dst_unused:UNUSED_PAD src0_sel:WORD_1 src1_sel:WORD_1
	v_sub_f16_e32 v32, v7, v9
	v_sub_f16_sdwa v33, v11, v7 dst_sel:DWORD dst_unused:UNUSED_PAD src0_sel:WORD_1 src1_sel:WORD_1
	v_sub_f16_sdwa v34, v7, v11 dst_sel:DWORD dst_unused:UNUSED_PAD src0_sel:WORD_1 src1_sel:WORD_1
	v_pk_add_f16 v7, v24, v7
	v_sub_f16_sdwa v25, v10, v6 dst_sel:DWORD dst_unused:UNUSED_PAD src0_sel:WORD_1 src1_sel:WORD_1
	v_add_f16_e32 v37, v11, v15
	v_pk_add_f16 v7, v7, v9
	v_sub_f16_sdwa v41, v14, v8 dst_sel:DWORD dst_unused:UNUSED_PAD src0_sel:WORD_1 src1_sel:WORD_1
	v_pk_add_f16 v21, v12, v10
	v_sub_f16_sdwa v36, v11, v15 dst_sel:DWORD dst_unused:UNUSED_PAD src0_sel:WORD_1 src1_sel:WORD_1
	v_sub_f16_e32 v38, v11, v15
	v_add_f16_sdwa v11, v11, v15 dst_sel:DWORD dst_unused:UNUSED_PAD src0_sel:WORD_1 src1_sel:WORD_1
	v_sub_f16_e32 v42, v15, v9
	v_sub_f16_e32 v43, v9, v15
	v_sub_f16_sdwa v44, v15, v9 dst_sel:DWORD dst_unused:UNUSED_PAD src0_sel:WORD_1 src1_sel:WORD_1
	v_sub_f16_sdwa v9, v9, v15 dst_sel:DWORD dst_unused:UNUSED_PAD src0_sel:WORD_1 src1_sel:WORD_1
	v_pk_add_f16 v7, v7, v15
	v_add_f16_e32 v15, v25, v41
	v_fma_f16 v25, v27, -0.5, v13
	v_fma_f16 v27, v37, -0.5, v13
	v_lshrrev_b32_e32 v13, 16, v13
	v_add_f16_e32 v17, v6, v8
	v_sub_f16_sdwa v18, v6, v8 dst_sel:DWORD dst_unused:UNUSED_PAD src0_sel:WORD_1 src1_sel:WORD_1
	v_sub_f16_e32 v19, v10, v6
	v_sub_f16_e32 v20, v6, v10
	v_add_f16_sdwa v22, v6, v8 dst_sel:DWORD dst_unused:UNUSED_PAD src0_sel:WORD_1 src1_sel:WORD_1
	v_sub_f16_e32 v23, v6, v8
	v_sub_f16_sdwa v26, v6, v10 dst_sel:DWORD dst_unused:UNUSED_PAD src0_sel:WORD_1 src1_sel:WORD_1
	v_pk_add_f16 v6, v21, v6
	v_fma_f16 v31, v31, -0.5, v13
	v_pk_add_f16 v6, v6, v8
	v_sub_f16_e32 v39, v14, v8
	v_fma_f16 v37, v38, s5, v31
	v_sub_f16_sdwa v21, v10, v14 dst_sel:DWORD dst_unused:UNUSED_PAD src0_sel:WORD_1 src1_sel:WORD_1
	v_add_f16_e32 v24, v10, v14
	v_sub_f16_e32 v35, v10, v14
	v_add_f16_sdwa v10, v10, v14 dst_sel:DWORD dst_unused:UNUSED_PAD src0_sel:WORD_1 src1_sel:WORD_1
	v_sub_f16_e32 v40, v8, v14
	v_sub_f16_sdwa v8, v8, v14 dst_sel:DWORD dst_unused:UNUSED_PAD src0_sel:WORD_1 src1_sel:WORD_1
	v_pk_add_f16 v6, v6, v14
	v_add_f16_e32 v14, v19, v39
	v_add_f16_e32 v19, v29, v42
	;; [unrolled: 1-line block ×3, first 2 shown]
	v_fma_f16 v33, v36, s2, v25
	v_fma_f16 v37, v32, s8, v37
	;; [unrolled: 1-line block ×5, first 2 shown]
	v_mul_f16_e32 v39, 0xb8b4, v37
	v_fma_f16 v17, v17, -0.5, v12
	v_fma_f16 v24, v24, -0.5, v12
	v_lshrrev_b32_e32 v12, 16, v12
	v_fma_f16 v39, v33, s9, v39
	v_mul_f16_e32 v33, 0x38b4, v33
	v_fma_f16 v33, v37, s9, v33
	v_fma_f16 v37, v21, s2, v17
	;; [unrolled: 1-line block ×3, first 2 shown]
	v_fma_f16 v10, v10, -0.5, v12
	v_fma_f16 v37, v18, s3, v37
	v_fma_f16 v22, v22, -0.5, v12
	v_fma_f16 v17, v18, s8, v17
	v_fma_f16 v12, v23, s2, v10
	;; [unrolled: 1-line block ×5, first 2 shown]
	v_add_f16_e32 v17, v20, v40
	v_fma_f16 v20, v18, s5, v24
	v_fma_f16 v18, v18, s2, v24
	v_add_f16_e32 v8, v26, v8
	v_fma_f16 v12, v35, s8, v12
	v_fma_f16 v10, v35, s3, v10
	;; [unrolled: 1-line block ×12, first 2 shown]
	v_fma_f16 v11, v11, -0.5, v13
	v_fma_f16 v41, v23, s8, v41
	v_fma_f16 v18, v23, s3, v18
	;; [unrolled: 1-line block ×8, first 2 shown]
	v_add_f16_e32 v15, v30, v43
	v_fma_f16 v19, v36, s3, v19
	v_fma_f16 v21, v36, s8, v21
	v_add_f16_e32 v9, v34, v9
	v_fma_f16 v11, v32, s5, v11
	v_fma_f16 v13, v38, s8, v13
	;; [unrolled: 1-line block ×9, first 2 shown]
	v_mul_f16_e32 v11, 0xbb9c, v13
	v_mul_f16_e32 v13, 0x34f2, v13
	v_fma_f16 v21, v29, s4, v21
	v_fma_f16 v11, v19, s4, v11
	;; [unrolled: 1-line block ×3, first 2 shown]
	s_mov_b32 s2, 0xb4f2
	v_mul_f16_e32 v19, 0xbb9c, v9
	v_mul_f16_e32 v9, 0xb4f2, v9
	v_fma_f16 v19, v15, s2, v19
	v_fma_f16 v9, v15, s5, v9
	s_mov_b32 s2, 0xba79
	v_mul_f16_e32 v15, 0xb8b4, v21
	v_mul_f16_e32 v21, 0xba79, v21
	v_fma_f16 v15, v10, s2, v15
	v_fma_f16 v10, v10, s8, v21
	v_add_f16_e32 v42, v37, v39
	v_add_f16_e32 v44, v41, v33
	;; [unrolled: 1-line block ×4, first 2 shown]
	v_sub_f16_e32 v12, v12, v13
	v_add_f16_e32 v13, v8, v9
	v_sub_f16_e32 v8, v8, v9
	v_add_f16_e32 v9, v18, v10
	v_pack_b32_f16 v42, v42, v44
	v_mad_u32_u24 v44, v5, 36, v0
	v_pk_add_f16 v45, v6, v7
	v_sub_f16_e32 v21, v37, v39
	v_add_f16_e32 v22, v20, v11
	v_sub_f16_e32 v11, v20, v11
	v_sub_f16_e32 v15, v14, v15
	;; [unrolled: 1-line block ×3, first 2 shown]
	v_pk_add_f16 v6, v6, v7 neg_lo:[0,1] neg_hi:[0,1]
	v_pack_b32_f16 v7, v23, v9
	v_add_f16_e32 v20, v17, v19
	v_sub_f16_e32 v17, v17, v19
	v_sub_f16_e32 v19, v18, v10
	ds_write2_b32 v44, v7, v6 offset0:4 offset1:5
	v_pack_b32_f16 v6, v11, v12
	v_pack_b32_f16 v7, v21, v14
	;; [unrolled: 1-line block ×4, first 2 shown]
	ds_write2_b32 v44, v7, v6 offset0:6 offset1:7
	v_pack_b32_f16 v6, v15, v19
	v_pack_b32_f16 v7, v17, v8
	ds_write2_b32 v44, v13, v10 offset0:2 offset1:3
	ds_write2_b32 v44, v7, v6 offset0:8 offset1:9
	v_add_u32_e32 v6, 0x500, v0
	v_add_u32_e32 v10, 0x1000, v0
	ds_write2_b32 v44, v45, v42 offset1:1
	s_waitcnt lgkmcnt(0)
	s_barrier
	ds_read2_b32 v[8:9], v0 offset1:162
	ds_read2_b32 v[6:7], v6 offset0:4 offset1:220
	ds_read2_b32 v[10:11], v10 offset0:56 offset1:218
	;; [unrolled: 1-line block ×3, first 2 shown]
	ds_read_b32 v14, v0 offset:5616
                                        ; implicit-def: $vgpr23
                                        ; implicit-def: $vgpr22
                                        ; implicit-def: $vgpr25
                                        ; implicit-def: $vgpr24
	s_and_saveexec_b64 s[2:3], vcc
	s_cbranch_execz .LBB0_21
; %bb.20:
	ds_read_b32 v15, v0 offset:1944
	ds_read_b32 v22, v0 offset:6264
	;; [unrolled: 1-line block ×3, first 2 shown]
	s_waitcnt lgkmcnt(2)
	v_lshrrev_b32_e32 v19, 16, v15
	s_waitcnt lgkmcnt(1)
	v_lshrrev_b32_e32 v23, 16, v22
	;; [unrolled: 2-line block ×3, first 2 shown]
.LBB0_21:
	s_or_b64 exec, exec, s[2:3]
	s_mov_b32 s2, 0xcccd
	v_add_u32_e32 v16, 0x1e6, v5
	v_add_u32_e32 v18, 0xa2, v5
	v_mul_u32_u24_sdwa v17, v16, s2 dst_sel:DWORD dst_unused:UNUSED_PAD src0_sel:WORD_0 src1_sel:DWORD
	v_mul_u32_u24_sdwa v30, v18, s2 dst_sel:DWORD dst_unused:UNUSED_PAD src0_sel:WORD_0 src1_sel:DWORD
	v_lshrrev_b32_e32 v20, 19, v17
	v_lshrrev_b32_e32 v36, 19, v30
	v_mul_lo_u16_e32 v17, 10, v20
	v_mul_lo_u16_e32 v30, 10, v36
	v_sub_u16_e32 v21, v16, v17
	v_sub_u16_e32 v37, v18, v30
	v_lshlrev_b32_e32 v17, 3, v21
	v_lshlrev_b32_e32 v30, 3, v37
	global_load_dwordx2 v[26:27], v17, s[12:13]
	s_movk_i32 s3, 0xcd
	global_load_dwordx2 v[30:31], v30, s[12:13]
	v_add_u32_e32 v17, 0x144, v5
	v_mul_u32_u24_sdwa v28, v17, s2 dst_sel:DWORD dst_unused:UNUSED_PAD src0_sel:WORD_0 src1_sel:DWORD
	v_lshrrev_b32_e32 v34, 19, v28
	v_mul_lo_u16_e32 v28, 10, v34
	v_sub_u16_e32 v35, v17, v28
	v_lshlrev_b32_e32 v28, 3, v35
	v_mul_lo_u16_sdwa v33, v5, s3 dst_sel:DWORD dst_unused:UNUSED_PAD src0_sel:BYTE_0 src1_sel:DWORD
	global_load_dwordx2 v[28:29], v28, s[12:13]
	v_lshrrev_b16_e32 v38, 11, v33
	v_mul_lo_u16_e32 v33, 10, v38
	v_mov_b32_e32 v32, 3
	v_sub_u16_e32 v39, v5, v33
	v_lshlrev_b32_sdwa v32, v32, v39 dst_sel:DWORD dst_unused:UNUSED_PAD src0_sel:DWORD src1_sel:BYTE_0
	global_load_dwordx2 v[32:33], v32, s[12:13]
	s_waitcnt lgkmcnt(0)
	v_lshrrev_b32_e32 v41, 16, v14
	v_lshrrev_b32_e32 v40, 16, v13
	;; [unrolled: 1-line block ×6, first 2 shown]
	s_mov_b32 s2, 0xbaee
	s_movk_i32 s3, 0x3aee
	v_lshrrev_b32_e32 v46, 16, v8
	s_waitcnt vmcnt(0)
	s_barrier
	v_mul_f16_sdwa v47, v25, v26 dst_sel:DWORD dst_unused:UNUSED_PAD src0_sel:DWORD src1_sel:WORD_1
	v_fma_f16 v47, v24, v26, v47
	v_mul_f16_sdwa v24, v24, v26 dst_sel:DWORD dst_unused:UNUSED_PAD src0_sel:DWORD src1_sel:WORD_1
	v_fma_f16 v24, v25, v26, -v24
	v_mul_f16_sdwa v25, v23, v27 dst_sel:DWORD dst_unused:UNUSED_PAD src0_sel:DWORD src1_sel:WORD_1
	v_fma_f16 v25, v22, v27, v25
	v_mul_f16_sdwa v22, v22, v27 dst_sel:DWORD dst_unused:UNUSED_PAD src0_sel:DWORD src1_sel:WORD_1
	v_fma_f16 v26, v23, v27, -v22
	v_lshrrev_b32_e32 v22, 16, v9
	v_mul_f16_sdwa v23, v29, v41 dst_sel:DWORD dst_unused:UNUSED_PAD src0_sel:WORD_1 src1_sel:DWORD
	v_mul_f16_sdwa v27, v29, v14 dst_sel:DWORD dst_unused:UNUSED_PAD src0_sel:WORD_1 src1_sel:DWORD
	v_fma_f16 v14, v29, v14, v23
	v_mul_f16_sdwa v23, v28, v13 dst_sel:DWORD dst_unused:UNUSED_PAD src0_sel:WORD_1 src1_sel:DWORD
	v_fma_f16 v27, v29, v41, -v27
	v_mul_f16_sdwa v29, v28, v40 dst_sel:DWORD dst_unused:UNUSED_PAD src0_sel:WORD_1 src1_sel:DWORD
	v_fma_f16 v23, v28, v40, -v23
	v_mul_f16_sdwa v40, v30, v42 dst_sel:DWORD dst_unused:UNUSED_PAD src0_sel:WORD_1 src1_sel:DWORD
	v_fma_f16 v13, v28, v13, v29
	v_mul_f16_sdwa v28, v30, v12 dst_sel:DWORD dst_unused:UNUSED_PAD src0_sel:WORD_1 src1_sel:DWORD
	v_mul_f16_sdwa v29, v31, v11 dst_sel:DWORD dst_unused:UNUSED_PAD src0_sel:WORD_1 src1_sel:DWORD
	v_fma_f16 v12, v30, v12, v40
	v_mul_f16_sdwa v40, v31, v43 dst_sel:DWORD dst_unused:UNUSED_PAD src0_sel:WORD_1 src1_sel:DWORD
	v_fma_f16 v29, v31, v43, -v29
	v_fma_f16 v11, v31, v11, v40
	v_mul_f16_sdwa v31, v32, v45 dst_sel:DWORD dst_unused:UNUSED_PAD src0_sel:WORD_1 src1_sel:DWORD
	v_mul_f16_sdwa v41, v33, v44 dst_sel:DWORD dst_unused:UNUSED_PAD src0_sel:WORD_1 src1_sel:DWORD
	v_fma_f16 v28, v30, v42, -v28
	v_mul_f16_sdwa v42, v32, v7 dst_sel:DWORD dst_unused:UNUSED_PAD src0_sel:WORD_1 src1_sel:DWORD
	v_fma_f16 v7, v32, v7, v31
	v_mul_f16_sdwa v30, v33, v10 dst_sel:DWORD dst_unused:UNUSED_PAD src0_sel:WORD_1 src1_sel:DWORD
	v_fma_f16 v10, v33, v10, v41
	v_add_f16_e32 v40, v8, v7
	v_fma_f16 v30, v33, v44, -v30
	v_add_f16_e32 v31, v7, v10
	v_add_f16_e32 v41, v9, v12
	v_sub_f16_e32 v7, v7, v10
	v_sub_f16_e32 v44, v28, v29
	v_add_f16_e32 v10, v40, v10
	v_add_f16_e32 v40, v22, v28
	;; [unrolled: 1-line block ×3, first 2 shown]
	v_fma_f16 v33, v32, v45, -v42
	v_add_f16_e32 v32, v12, v11
	v_fma_f16 v22, v28, -0.5, v22
	v_add_f16_e32 v28, v41, v11
	v_sub_f16_e32 v11, v12, v11
	v_fma_f16 v12, v11, s3, v22
	v_fma_f16 v11, v11, s2, v22
	v_add_f16_e32 v22, v13, v14
	v_sub_f16_e32 v42, v33, v30
	v_fma_f16 v8, v31, -0.5, v8
	v_add_f16_e32 v40, v40, v29
	v_fma_f16 v22, v22, -0.5, v6
	v_lshrrev_b32_e32 v29, 16, v6
	v_sub_f16_e32 v41, v23, v27
	v_add_f16_e32 v43, v46, v33
	v_fma_f16 v9, v32, -0.5, v9
	v_fma_f16 v32, v42, s2, v8
	v_fma_f16 v8, v42, s3, v8
	;; [unrolled: 1-line block ×4, first 2 shown]
	v_add_f16_e32 v22, v29, v23
	v_add_f16_e32 v33, v33, v30
	;; [unrolled: 1-line block ×6, first 2 shown]
	v_fma_f16 v22, v22, -0.5, v29
	v_add_f16_e32 v6, v6, v14
	v_sub_f16_e32 v13, v13, v14
	v_add_f16_e32 v14, v47, v25
	v_fma_f16 v27, v13, s3, v22
	v_fma_f16 v13, v13, s2, v22
	v_fma_f16 v14, v14, -0.5, v15
	v_sub_f16_e32 v22, v24, v26
	v_fma_f16 v23, v22, s2, v14
	v_fma_f16 v22, v22, s3, v14
	v_add_f16_e32 v14, v19, v24
	v_add_f16_e32 v24, v24, v26
	;; [unrolled: 1-line block ×3, first 2 shown]
	v_fma_f16 v19, v24, -0.5, v19
	v_add_f16_e32 v15, v15, v25
	v_sub_f16_e32 v25, v47, v25
	v_fma_f16 v31, v33, -0.5, v46
	v_fma_f16 v24, v25, s3, v19
	v_fma_f16 v19, v25, s2, v19
	v_mov_b32_e32 v25, 2
	v_fma_f16 v33, v7, s3, v31
	v_fma_f16 v7, v7, s2, v31
	v_add_f16_e32 v14, v14, v26
	v_lshlrev_b32_sdwa v25, v25, v39 dst_sel:DWORD dst_unused:UNUSED_PAD src0_sel:DWORD src1_sel:BYTE_0
	v_mul_u32_u24_e32 v26, 0x78, v38
	v_add3_u32 v25, 0, v26, v25
	v_pack_b32_f16 v7, v8, v7
	v_fma_f16 v31, v44, s2, v9
	v_pack_b32_f16 v10, v10, v30
	v_pack_b32_f16 v26, v32, v33
	ds_write_b32 v25, v7 offset:80
	v_mul_u32_u24_e32 v7, 0x78, v36
	v_lshlrev_b32_e32 v8, 2, v37
	v_fma_f16 v9, v44, s3, v9
	ds_write2_b32 v25, v10, v26 offset1:10
	v_add3_u32 v7, 0, v7, v8
	v_pack_b32_f16 v8, v28, v40
	v_pack_b32_f16 v10, v31, v12
	ds_write2_b32 v7, v8, v10 offset1:10
	v_pack_b32_f16 v8, v9, v11
	ds_write_b32 v7, v8 offset:80
	v_mul_u32_u24_e32 v7, 0x78, v34
	v_lshlrev_b32_e32 v8, 2, v35
	v_add3_u32 v7, 0, v7, v8
	v_pack_b32_f16 v6, v6, v43
	v_pack_b32_f16 v8, v42, v27
	ds_write2_b32 v7, v6, v8 offset1:10
	v_pack_b32_f16 v6, v41, v13
	ds_write_b32 v7, v6 offset:80
	s_and_saveexec_b64 s[2:3], vcc
	s_cbranch_execz .LBB0_23
; %bb.22:
	v_mul_lo_u16_e32 v6, 30, v20
	v_lshlrev_b32_e32 v7, 2, v21
	v_lshlrev_b32_e32 v6, 2, v6
	s_mov_b32 s4, 0x5040100
	v_add3_u32 v6, 0, v7, v6
	v_perm_b32 v7, v14, v15, s4
	v_perm_b32 v8, v24, v23, s4
	ds_write2_b32 v6, v7, v8 offset1:10
	v_perm_b32 v7, v19, v22, s4
	ds_write_b32 v6, v7 offset:80
.LBB0_23:
	s_or_b64 exec, exec, s[2:3]
	v_add_u32_e32 v10, 0x1000, v0
	s_waitcnt lgkmcnt(0)
	s_barrier
	v_add_u32_e32 v6, 0x500, v0
	ds_read2_b32 v[12:13], v10 offset0:56 offset1:218
	v_add_u32_e32 v10, 0xa00, v0
	ds_read2_b32 v[8:9], v0 offset1:162
	ds_read2_b32 v[6:7], v6 offset0:4 offset1:220
	ds_read2_b32 v[10:11], v10 offset0:62 offset1:224
	ds_read_b32 v20, v0 offset:5616
	s_and_saveexec_b64 s[2:3], vcc
	s_cbranch_execz .LBB0_25
; %bb.24:
	ds_read_b32 v15, v0 offset:1944
	ds_read_b32 v22, v0 offset:6264
	;; [unrolled: 1-line block ×3, first 2 shown]
	s_waitcnt lgkmcnt(2)
	v_lshrrev_b32_e32 v14, 16, v15
	s_waitcnt lgkmcnt(1)
	v_lshrrev_b32_e32 v19, 16, v22
	;; [unrolled: 2-line block ×3, first 2 shown]
.LBB0_25:
	s_or_b64 exec, exec, s[2:3]
	s_movk_i32 s2, 0x89
	v_mul_lo_u16_sdwa v25, v5, s2 dst_sel:DWORD dst_unused:UNUSED_PAD src0_sel:BYTE_0 src1_sel:DWORD
	v_lshrrev_b16_e32 v35, 12, v25
	v_mul_lo_u16_e32 v25, 30, v35
	v_sub_u16_e32 v36, v5, v25
	v_mov_b32_e32 v25, 3
	v_lshlrev_b32_sdwa v25, v25, v36 dst_sel:DWORD dst_unused:UNUSED_PAD src0_sel:DWORD src1_sel:BYTE_0
	global_load_dwordx2 v[25:26], v25, s[12:13] offset:80
	s_waitcnt lgkmcnt(2)
	v_lshrrev_b32_e32 v29, 16, v7
	v_lshrrev_b32_e32 v30, 16, v12
	s_mov_b32 s2, 0x8889
	s_waitcnt lgkmcnt(1)
	v_lshrrev_b32_e32 v31, 16, v10
	v_lshrrev_b32_e32 v32, 16, v13
	;; [unrolled: 1-line block ×3, first 2 shown]
	s_waitcnt lgkmcnt(0)
	v_lshrrev_b32_e32 v34, 16, v20
	v_lshrrev_b32_e32 v21, 16, v8
	s_movk_i32 s3, 0x3aee
	v_lshrrev_b32_e32 v27, 16, v9
	v_lshrrev_b32_e32 v28, 16, v6
	s_waitcnt vmcnt(0)
	v_mul_f16_sdwa v37, v25, v29 dst_sel:DWORD dst_unused:UNUSED_PAD src0_sel:WORD_1 src1_sel:DWORD
	v_fma_f16 v37, v25, v7, v37
	v_mul_f16_sdwa v7, v25, v7 dst_sel:DWORD dst_unused:UNUSED_PAD src0_sel:WORD_1 src1_sel:DWORD
	v_fma_f16 v7, v25, v29, -v7
	v_mul_f16_sdwa v25, v26, v30 dst_sel:DWORD dst_unused:UNUSED_PAD src0_sel:WORD_1 src1_sel:DWORD
	v_fma_f16 v29, v26, v12, v25
	v_mul_f16_sdwa v12, v26, v12 dst_sel:DWORD dst_unused:UNUSED_PAD src0_sel:WORD_1 src1_sel:DWORD
	v_fma_f16 v30, v26, v30, -v12
	v_mul_u32_u24_sdwa v12, v18, s2 dst_sel:DWORD dst_unused:UNUSED_PAD src0_sel:WORD_0 src1_sel:DWORD
	v_lshrrev_b32_e32 v38, 20, v12
	v_mul_lo_u16_e32 v12, 30, v38
	v_sub_u16_e32 v39, v18, v12
	v_lshlrev_b32_e32 v12, 3, v39
	global_load_dwordx2 v[25:26], v12, s[12:13] offset:80
	s_waitcnt vmcnt(0)
	v_mul_f16_sdwa v12, v25, v31 dst_sel:DWORD dst_unused:UNUSED_PAD src0_sel:WORD_1 src1_sel:DWORD
	v_fma_f16 v40, v25, v10, v12
	v_mul_f16_sdwa v10, v25, v10 dst_sel:DWORD dst_unused:UNUSED_PAD src0_sel:WORD_1 src1_sel:DWORD
	v_fma_f16 v25, v25, v31, -v10
	v_mul_f16_sdwa v10, v26, v32 dst_sel:DWORD dst_unused:UNUSED_PAD src0_sel:WORD_1 src1_sel:DWORD
	v_fma_f16 v31, v26, v13, v10
	v_mul_f16_sdwa v10, v26, v13 dst_sel:DWORD dst_unused:UNUSED_PAD src0_sel:WORD_1 src1_sel:DWORD
	v_fma_f16 v26, v26, v32, -v10
	v_mul_u32_u24_sdwa v10, v17, s2 dst_sel:DWORD dst_unused:UNUSED_PAD src0_sel:WORD_0 src1_sel:DWORD
	v_lshrrev_b32_e32 v32, 20, v10
	v_mul_lo_u16_e32 v10, 30, v32
	v_sub_u16_e32 v41, v17, v10
	v_lshlrev_b32_e32 v10, 3, v41
	global_load_dwordx2 v[12:13], v10, s[12:13] offset:80
	s_waitcnt vmcnt(0)
	v_mul_f16_sdwa v10, v12, v33 dst_sel:DWORD dst_unused:UNUSED_PAD src0_sel:WORD_1 src1_sel:DWORD
	v_fma_f16 v42, v12, v11, v10
	v_mul_f16_sdwa v10, v12, v11 dst_sel:DWORD dst_unused:UNUSED_PAD src0_sel:WORD_1 src1_sel:DWORD
	v_fma_f16 v33, v12, v33, -v10
	v_mul_f16_sdwa v10, v13, v34 dst_sel:DWORD dst_unused:UNUSED_PAD src0_sel:WORD_1 src1_sel:DWORD
	v_fma_f16 v43, v13, v20, v10
	v_mul_f16_sdwa v10, v13, v20 dst_sel:DWORD dst_unused:UNUSED_PAD src0_sel:WORD_1 src1_sel:DWORD
	v_fma_f16 v20, v13, v34, -v10
	v_mul_u32_u24_sdwa v10, v16, s2 dst_sel:DWORD dst_unused:UNUSED_PAD src0_sel:WORD_0 src1_sel:DWORD
	v_lshrrev_b32_e32 v10, 20, v10
	v_mul_lo_u16_e32 v11, 30, v10
	v_sub_u16_e32 v13, v16, v11
	v_lshlrev_b32_e32 v11, 3, v13
	global_load_dwordx2 v[11:12], v11, s[12:13] offset:80
	s_mov_b32 s2, 0xbaee
	s_waitcnt vmcnt(0)
	s_barrier
	v_mul_f16_sdwa v34, v24, v11 dst_sel:DWORD dst_unused:UNUSED_PAD src0_sel:DWORD src1_sel:WORD_1
	v_fma_f16 v34, v23, v11, v34
	v_mul_f16_sdwa v23, v23, v11 dst_sel:DWORD dst_unused:UNUSED_PAD src0_sel:DWORD src1_sel:WORD_1
	v_fma_f16 v44, v24, v11, -v23
	v_mul_f16_sdwa v11, v19, v12 dst_sel:DWORD dst_unused:UNUSED_PAD src0_sel:DWORD src1_sel:WORD_1
	v_fma_f16 v45, v22, v12, v11
	v_mul_f16_sdwa v11, v22, v12 dst_sel:DWORD dst_unused:UNUSED_PAD src0_sel:DWORD src1_sel:WORD_1
	v_fma_f16 v12, v19, v12, -v11
	v_add_f16_e32 v11, v8, v37
	v_add_f16_e32 v19, v11, v29
	v_add_f16_e32 v11, v37, v29
	v_fma_f16 v8, v11, -0.5, v8
	v_sub_f16_e32 v11, v7, v30
	v_fma_f16 v46, v11, s2, v8
	v_fma_f16 v8, v11, s3, v8
	v_add_f16_e32 v11, v21, v7
	v_add_f16_e32 v7, v7, v30
	v_add_f16_e32 v47, v11, v30
	v_fma_f16 v7, v7, -0.5, v21
	v_sub_f16_e32 v11, v37, v29
	v_fma_f16 v29, v11, s3, v7
	v_fma_f16 v30, v11, s2, v7
	;; [unrolled: 7-line block ×4, first 2 shown]
	v_add_f16_e32 v11, v42, v43
	v_add_f16_e32 v7, v6, v42
	v_fma_f16 v6, v11, -0.5, v6
	v_sub_f16_e32 v11, v33, v20
	v_fma_f16 v24, v11, s2, v6
	v_fma_f16 v23, v11, s3, v6
	v_add_f16_e32 v6, v28, v33
	v_add_f16_e32 v11, v33, v20
	v_add_f16_e32 v6, v6, v20
	v_fma_f16 v11, v11, -0.5, v28
	v_sub_f16_e32 v20, v42, v43
	v_fma_f16 v28, v20, s3, v11
	v_fma_f16 v27, v20, s2, v11
	v_add_f16_e32 v11, v15, v34
	;; [unrolled: 7-line block ×3, first 2 shown]
	v_add_f16_e32 v25, v15, v12
	v_add_f16_e32 v12, v44, v12
	v_fma_f16 v12, v12, -0.5, v14
	v_sub_f16_e32 v14, v34, v45
	v_mov_b32_e32 v15, 2
	v_fma_f16 v26, v14, s3, v12
	v_fma_f16 v12, v14, s2, v12
	v_mul_u32_u24_e32 v14, 0x168, v35
	v_lshlrev_b32_sdwa v15, v15, v36 dst_sel:DWORD dst_unused:UNUSED_PAD src0_sel:DWORD src1_sel:BYTE_0
	v_add3_u32 v14, 0, v14, v15
	v_pack_b32_f16 v15, v19, v47
	v_pack_b32_f16 v19, v46, v29
	;; [unrolled: 1-line block ×3, first 2 shown]
	ds_write2_b32 v14, v15, v19 offset1:30
	ds_write_b32 v14, v8 offset:240
	v_mul_u32_u24_e32 v8, 0x168, v38
	v_lshlrev_b32_e32 v14, 2, v39
	v_add3_u32 v8, 0, v8, v14
	v_pack_b32_f16 v14, v37, v49
	v_pack_b32_f16 v15, v48, v31
	;; [unrolled: 1-line block ×3, first 2 shown]
	v_add_f16_e32 v7, v7, v43
	ds_write2_b32 v8, v14, v15 offset1:30
	ds_write_b32 v8, v9 offset:240
	v_mul_u32_u24_e32 v8, 0x168, v32
	v_lshlrev_b32_e32 v9, 2, v41
	v_add3_u32 v8, 0, v8, v9
	v_pack_b32_f16 v9, v7, v6
	v_pack_b32_f16 v14, v24, v28
	ds_write2_b32 v8, v9, v14 offset1:30
	v_pack_b32_f16 v9, v23, v27
	ds_write_b32 v8, v9 offset:240
	s_and_saveexec_b64 s[2:3], vcc
	s_cbranch_execz .LBB0_27
; %bb.26:
	v_mul_lo_u16_e32 v8, 0x5a, v10
	v_lshlrev_b32_e32 v9, 2, v13
	v_lshlrev_b32_e32 v8, 2, v8
	s_mov_b32 s4, 0x5040100
	v_add3_u32 v8, 0, v9, v8
	v_perm_b32 v9, v25, v21, s4
	v_perm_b32 v10, v26, v22, s4
	ds_write2_b32 v8, v9, v10 offset1:30
	v_perm_b32 v9, v12, v11, s4
	ds_write_b32 v8, v9 offset:240
.LBB0_27:
	s_or_b64 exec, exec, s[2:3]
	s_waitcnt lgkmcnt(0)
	s_barrier
	ds_read_b32 v10, v0
	ds_read_b32 v20, v0 offset:1080
	ds_read_b32 v19, v0 offset:2160
	;; [unrolled: 1-line block ×5, first 2 shown]
	s_movk_i32 s2, 0x6c
	v_cmp_gt_u32_e64 s[2:3], s2, v5
	s_and_saveexec_b64 s[4:5], s[2:3]
	s_cbranch_execz .LBB0_29
; %bb.28:
	ds_read_b32 v7, v0 offset:648
	ds_read_b32 v21, v0 offset:3888
	;; [unrolled: 1-line block ×6, first 2 shown]
	s_waitcnt lgkmcnt(5)
	v_lshrrev_b32_e32 v6, 16, v7
	s_waitcnt lgkmcnt(4)
	v_lshrrev_b32_e32 v25, 16, v21
	;; [unrolled: 2-line block ×6, first 2 shown]
.LBB0_29:
	s_or_b64 exec, exec, s[4:5]
	s_movk_i32 s4, 0x2d83
	v_mul_u32_u24_sdwa v8, v18, s4 dst_sel:DWORD dst_unused:UNUSED_PAD src0_sel:WORD_0 src1_sel:DWORD
	v_lshrrev_b32_e32 v8, 20, v8
	v_mul_lo_u16_e32 v9, 0x5a, v8
	v_sub_u16_e32 v9, v18, v9
	v_mul_u32_u24_e32 v29, 5, v9
	v_lshlrev_b32_e32 v39, 2, v29
	global_load_dwordx4 v[29:32], v39, s[12:13] offset:320
	s_movk_i32 s4, 0x5a
	v_add_u32_e32 v33, 0xffffffa6, v5
	v_cmp_gt_u32_e64 s[4:5], s4, v5
	v_cndmask_b32_e64 v40, v33, v5, s[4:5]
	v_mov_b32_e32 v34, 0
	v_mul_i32_i24_e32 v33, 5, v40
	v_lshlrev_b64 v[33:34], 2, v[33:34]
	v_mov_b32_e32 v35, s13
	v_add_co_u32_e64 v37, s[4:5], s12, v33
	v_addc_co_u32_e64 v38, s[4:5], v35, v34, s[4:5]
	global_load_dwordx4 v[33:36], v[37:38], off offset:320
	global_load_dword v41, v39, s[12:13] offset:336
	global_load_dword v42, v[37:38], off offset:336
	s_waitcnt lgkmcnt(4)
	v_lshrrev_b32_e32 v38, 16, v20
	v_lshrrev_b32_e32 v37, 16, v10
	s_mov_b32 s4, 0xbaee
	s_movk_i32 s5, 0x3aee
	s_waitcnt vmcnt(0) lgkmcnt(0)
	s_barrier
	v_mul_f16_sdwa v39, v28, v29 dst_sel:DWORD dst_unused:UNUSED_PAD src0_sel:DWORD src1_sel:WORD_1
	v_fma_f16 v39, v24, v29, v39
	v_mul_f16_sdwa v24, v24, v29 dst_sel:DWORD dst_unused:UNUSED_PAD src0_sel:DWORD src1_sel:WORD_1
	v_fma_f16 v24, v28, v29, -v24
	v_mul_f16_sdwa v28, v27, v30 dst_sel:DWORD dst_unused:UNUSED_PAD src0_sel:DWORD src1_sel:WORD_1
	v_fma_f16 v28, v23, v30, v28
	v_mul_f16_sdwa v23, v23, v30 dst_sel:DWORD dst_unused:UNUSED_PAD src0_sel:DWORD src1_sel:WORD_1
	v_fma_f16 v23, v27, v30, -v23
	v_mul_f16_sdwa v27, v25, v31 dst_sel:DWORD dst_unused:UNUSED_PAD src0_sel:DWORD src1_sel:WORD_1
	v_fma_f16 v27, v21, v31, v27
	v_mul_f16_sdwa v21, v21, v31 dst_sel:DWORD dst_unused:UNUSED_PAD src0_sel:DWORD src1_sel:WORD_1
	v_fma_f16 v21, v25, v31, -v21
	v_mul_f16_sdwa v25, v26, v32 dst_sel:DWORD dst_unused:UNUSED_PAD src0_sel:DWORD src1_sel:WORD_1
	v_fma_f16 v25, v22, v32, v25
	v_mul_f16_sdwa v22, v22, v32 dst_sel:DWORD dst_unused:UNUSED_PAD src0_sel:DWORD src1_sel:WORD_1
	v_fma_f16 v22, v26, v32, -v22
	v_mul_f16_sdwa v32, v33, v38 dst_sel:DWORD dst_unused:UNUSED_PAD src0_sel:WORD_1 src1_sel:DWORD
	v_lshrrev_b32_e32 v26, 16, v19
	v_fma_f16 v32, v33, v20, v32
	v_mul_f16_sdwa v20, v33, v20 dst_sel:DWORD dst_unused:UNUSED_PAD src0_sel:WORD_1 src1_sel:DWORD
	v_fma_f16 v20, v33, v38, -v20
	v_mul_f16_sdwa v33, v34, v26 dst_sel:DWORD dst_unused:UNUSED_PAD src0_sel:WORD_1 src1_sel:DWORD
	v_lshrrev_b32_e32 v29, 16, v15
	v_fma_f16 v33, v34, v19, v33
	v_mul_f16_sdwa v19, v34, v19 dst_sel:DWORD dst_unused:UNUSED_PAD src0_sel:WORD_1 src1_sel:DWORD
	v_fma_f16 v19, v34, v26, -v19
	;; [unrolled: 5-line block ×4, first 2 shown]
	v_mul_f16_sdwa v30, v12, v41 dst_sel:DWORD dst_unused:UNUSED_PAD src0_sel:DWORD src1_sel:WORD_1
	v_mul_f16_sdwa v35, v42, v31 dst_sel:DWORD dst_unused:UNUSED_PAD src0_sel:WORD_1 src1_sel:DWORD
	v_mul_f16_sdwa v34, v11, v41 dst_sel:DWORD dst_unused:UNUSED_PAD src0_sel:DWORD src1_sel:WORD_1
	v_mul_f16_sdwa v36, v42, v13 dst_sel:DWORD dst_unused:UNUSED_PAD src0_sel:WORD_1 src1_sel:DWORD
	v_fma_f16 v30, v11, v41, v30
	v_fma_f16 v11, v42, v13, v35
	v_add_f16_e32 v13, v10, v33
	v_fma_f16 v34, v12, v41, -v34
	v_fma_f16 v12, v42, v31, -v36
	v_add_f16_e32 v31, v33, v29
	v_sub_f16_e32 v33, v33, v29
	v_add_f16_e32 v13, v13, v29
	v_add_f16_e32 v29, v20, v15
	;; [unrolled: 1-line block ×3, first 2 shown]
	v_sub_f16_e32 v42, v15, v12
	v_add_f16_e32 v29, v29, v12
	v_add_f16_e32 v12, v15, v12
	v_sub_f16_e32 v35, v19, v14
	v_add_f16_e32 v36, v37, v19
	v_add_f16_e32 v19, v19, v14
	;; [unrolled: 1-line block ×3, first 2 shown]
	v_fma_f16 v10, v31, -0.5, v10
	v_add_f16_e32 v31, v38, v11
	v_fma_f16 v12, v12, -0.5, v20
	v_sub_f16_e32 v11, v26, v11
	v_fma_f16 v19, v19, -0.5, v37
	v_fma_f16 v32, v41, -0.5, v32
	v_fma_f16 v15, v11, s5, v12
	v_fma_f16 v11, v11, s4, v12
	v_add_f16_e32 v14, v36, v14
	v_fma_f16 v36, v35, s4, v10
	v_fma_f16 v10, v35, s5, v10
	v_fma_f16 v35, v33, s5, v19
	v_fma_f16 v19, v33, s4, v19
	v_fma_f16 v33, v42, s4, v32
	v_fma_f16 v32, v42, s5, v32
	v_mul_f16_e32 v12, 0xbaee, v15
	v_mul_f16_e32 v20, 0xbaee, v11
	v_mul_f16_e32 v15, 0.5, v15
	v_mul_f16_e32 v11, -0.5, v11
	v_fma_f16 v15, v33, s5, v15
	v_fma_f16 v11, v32, s5, v11
	v_fma_f16 v12, v33, 0.5, v12
	v_fma_f16 v20, v32, -0.5, v20
	v_add_f16_e32 v33, v35, v15
	v_add_f16_e32 v32, v19, v11
	v_sub_f16_e32 v35, v35, v15
	v_sub_f16_e32 v44, v19, v11
	v_add_f16_e32 v11, v28, v25
	v_add_f16_e32 v15, v27, v30
	;; [unrolled: 1-line block ×3, first 2 shown]
	v_sub_f16_e32 v36, v36, v12
	v_fma_f16 v11, v11, -0.5, v7
	v_sub_f16_e32 v12, v23, v22
	v_fma_f16 v15, v15, -0.5, v39
	v_sub_f16_e32 v19, v21, v34
	v_add_f16_e32 v41, v10, v20
	v_sub_f16_e32 v43, v10, v20
	v_add_f16_e32 v10, v7, v28
	v_fma_f16 v7, v12, s4, v11
	v_fma_f16 v11, v12, s5, v11
	v_add_f16_e32 v12, v6, v23
	v_fma_f16 v20, v19, s4, v15
	v_fma_f16 v19, v19, s5, v15
	v_add_f16_e32 v15, v24, v21
	v_add_f16_e32 v21, v21, v34
	;; [unrolled: 1-line block ×3, first 2 shown]
	v_sub_f16_e32 v31, v13, v31
	v_add_f16_e32 v12, v12, v22
	v_add_f16_e32 v13, v23, v22
	v_fma_f16 v21, v21, -0.5, v24
	v_sub_f16_e32 v22, v27, v30
	v_fma_f16 v23, v22, s5, v21
	v_fma_f16 v21, v22, s4, v21
	v_mul_f16_e32 v22, 0xbaee, v23
	v_add_f16_e32 v42, v14, v29
	v_sub_f16_e32 v29, v14, v29
	v_add_f16_e32 v10, v10, v25
	v_sub_f16_e32 v14, v28, v25
	v_fma_f16 v25, v20, 0.5, v22
	v_mul_f16_e32 v22, 0xbaee, v21
	v_fma_f16 v6, v13, -0.5, v6
	v_fma_f16 v26, v19, -0.5, v22
	v_mul_f16_e32 v22, 0.5, v23
	v_fma_f16 v13, v14, s5, v6
	v_fma_f16 v14, v14, s4, v6
	v_add_f16_e32 v6, v39, v27
	v_fma_f16 v27, v20, s5, v22
	v_mul_f16_e32 v20, -0.5, v21
	s_movk_i32 s4, 0x59
	v_add_f16_e32 v6, v6, v30
	v_fma_f16 v28, v19, s5, v20
	v_mov_b32_e32 v30, 0x870
	v_cmp_lt_u32_e64 s[4:5], s4, v5
	v_add_f16_e32 v15, v15, v34
	v_cndmask_b32_e64 v30, 0, v30, s[4:5]
	v_lshlrev_b32_e32 v34, 2, v40
	v_add3_u32 v30, 0, v30, v34
	v_pack_b32_f16 v34, v37, v42
	v_pack_b32_f16 v33, v38, v33
	;; [unrolled: 1-line block ×4, first 2 shown]
	v_add_u32_e32 v31, 0x200, v30
	v_sub_f16_e32 v19, v10, v6
	v_sub_f16_e32 v22, v7, v25
	;; [unrolled: 1-line block ×6, first 2 shown]
	ds_write2_b32 v30, v34, v33 offset1:90
	ds_write2_b32 v31, v32, v29 offset0:52 offset1:142
	v_pack_b32_f16 v29, v36, v35
	v_pack_b32_f16 v31, v43, v44
	v_add_u32_e32 v30, 0x400, v30
	ds_write2_b32 v30, v29, v31 offset0:104 offset1:194
	s_and_saveexec_b64 s[4:5], s[2:3]
	s_cbranch_execz .LBB0_31
; %bb.30:
	v_mul_lo_u16_e32 v8, 0x21c, v8
	v_add_f16_e32 v13, v13, v27
	v_add_f16_e32 v12, v12, v15
	;; [unrolled: 1-line block ×4, first 2 shown]
	v_lshlrev_b32_e32 v9, 2, v9
	v_lshlrev_b32_e32 v8, 2, v8
	v_add_f16_e32 v14, v14, v28
	v_add_f16_e32 v11, v11, v26
	v_add3_u32 v8, 0, v9, v8
	v_pack_b32_f16 v6, v6, v12
	v_pack_b32_f16 v7, v7, v13
	s_mov_b32 s2, 0x5040100
	ds_write2_b32 v8, v6, v7 offset1:90
	v_pack_b32_f16 v6, v11, v14
	v_perm_b32 v7, v20, v19, s2
	v_add_u32_e32 v9, 0x200, v8
	ds_write2_b32 v9, v6, v7 offset0:52 offset1:142
	v_perm_b32 v6, v24, v22, s2
	v_perm_b32 v7, v23, v21, s2
	v_add_u32_e32 v8, 0x400, v8
	ds_write2_b32 v8, v6, v7 offset0:104 offset1:194
.LBB0_31:
	s_or_b64 exec, exec, s[4:5]
	v_add_u32_e32 v25, 0x500, v0
	v_add_u32_e32 v27, 0x1000, v0
	;; [unrolled: 1-line block ×3, first 2 shown]
	s_waitcnt lgkmcnt(0)
	s_barrier
	ds_read2_b32 v[8:9], v0 offset1:162
	ds_read2_b32 v[6:7], v25 offset0:4 offset1:220
	ds_read2_b32 v[14:15], v27 offset0:56 offset1:218
	;; [unrolled: 1-line block ×3, first 2 shown]
	ds_read_b32 v28, v0 offset:5616
	s_and_saveexec_b64 s[2:3], vcc
	s_cbranch_execz .LBB0_33
; %bb.32:
	ds_read_b32 v19, v0 offset:1944
	ds_read_b32 v21, v0 offset:6264
	;; [unrolled: 1-line block ×3, first 2 shown]
	s_waitcnt lgkmcnt(2)
	v_lshrrev_b32_e32 v20, 16, v19
	s_waitcnt lgkmcnt(1)
	v_lshrrev_b32_e32 v23, 16, v21
	;; [unrolled: 2-line block ×3, first 2 shown]
.LBB0_33:
	s_or_b64 exec, exec, s[2:3]
	v_lshlrev_b32_e32 v10, 1, v5
	v_mov_b32_e32 v11, 0
	v_lshlrev_b64 v[29:30], 2, v[10:11]
	v_lshlrev_b32_e32 v10, 1, v18
	v_mov_b32_e32 v33, s13
	v_add_co_u32_e64 v29, s[2:3], s12, v29
	v_lshlrev_b64 v[31:32], 2, v[10:11]
	v_addc_co_u32_e64 v30, s[2:3], v33, v30, s[2:3]
	v_lshlrev_b32_e32 v10, 1, v17
	v_add_co_u32_e64 v31, s[2:3], s12, v31
	v_lshlrev_b64 v[17:18], 2, v[10:11]
	v_addc_co_u32_e64 v32, s[2:3], v33, v32, s[2:3]
	global_load_dwordx2 v[29:30], v[29:30], off offset:2120
	v_add_co_u32_e64 v17, s[2:3], s12, v17
	global_load_dwordx2 v[31:32], v[31:32], off offset:2120
	v_addc_co_u32_e64 v18, s[2:3], v33, v18, s[2:3]
	global_load_dwordx2 v[17:18], v[17:18], off offset:2120
	s_waitcnt lgkmcnt(2)
	v_lshrrev_b32_e32 v39, 16, v14
	v_lshrrev_b32_e32 v40, 16, v7
	;; [unrolled: 1-line block ×3, first 2 shown]
	s_waitcnt lgkmcnt(1)
	v_lshrrev_b32_e32 v38, 16, v12
	v_lshrrev_b32_e32 v10, 16, v8
	s_waitcnt lgkmcnt(0)
	v_lshrrev_b32_e32 v35, 16, v28
	v_lshrrev_b32_e32 v36, 16, v13
	;; [unrolled: 1-line block ×3, first 2 shown]
	s_mov_b32 s4, 0xbaee
	s_movk_i32 s5, 0x3aee
	v_lshrrev_b32_e32 v34, 16, v6
	s_waitcnt vmcnt(0)
	s_barrier
	v_mul_f16_sdwa v41, v29, v40 dst_sel:DWORD dst_unused:UNUSED_PAD src0_sel:WORD_1 src1_sel:DWORD
	v_mul_f16_sdwa v42, v29, v7 dst_sel:DWORD dst_unused:UNUSED_PAD src0_sel:WORD_1 src1_sel:DWORD
	;; [unrolled: 1-line block ×4, first 2 shown]
	v_fma_f16 v7, v29, v7, v41
	v_fma_f16 v29, v29, v40, -v42
	v_fma_f16 v14, v30, v14, v43
	v_fma_f16 v30, v30, v39, -v44
	v_mul_f16_sdwa v39, v31, v38 dst_sel:DWORD dst_unused:UNUSED_PAD src0_sel:WORD_1 src1_sel:DWORD
	v_mul_f16_sdwa v40, v31, v12 dst_sel:DWORD dst_unused:UNUSED_PAD src0_sel:WORD_1 src1_sel:DWORD
	v_mul_f16_sdwa v41, v32, v37 dst_sel:DWORD dst_unused:UNUSED_PAD src0_sel:WORD_1 src1_sel:DWORD
	v_mul_f16_sdwa v42, v32, v15 dst_sel:DWORD dst_unused:UNUSED_PAD src0_sel:WORD_1 src1_sel:DWORD
	v_fma_f16 v12, v31, v12, v39
	v_fma_f16 v31, v31, v38, -v40
	v_fma_f16 v15, v32, v15, v41
	v_fma_f16 v32, v32, v37, -v42
	v_mul_f16_sdwa v37, v17, v36 dst_sel:DWORD dst_unused:UNUSED_PAD src0_sel:WORD_1 src1_sel:DWORD
	v_mul_f16_sdwa v38, v17, v13 dst_sel:DWORD dst_unused:UNUSED_PAD src0_sel:WORD_1 src1_sel:DWORD
	;; [unrolled: 1-line block ×3, first 2 shown]
	v_sub_f16_e32 v43, v29, v30
	v_add_f16_e32 v44, v10, v29
	v_add_f16_e32 v29, v29, v30
	v_mul_f16_sdwa v40, v18, v28 dst_sel:DWORD dst_unused:UNUSED_PAD src0_sel:WORD_1 src1_sel:DWORD
	v_add_f16_e32 v41, v8, v7
	v_add_f16_e32 v42, v7, v14
	v_sub_f16_e32 v7, v7, v14
	v_fma_f16 v13, v17, v13, v37
	v_fma_f16 v17, v17, v36, -v38
	v_fma_f16 v28, v18, v28, v39
	v_fma_f16 v10, v29, -0.5, v10
	v_add_f16_e32 v29, v9, v12
	v_sub_f16_e32 v36, v31, v32
	v_add_f16_e32 v37, v33, v31
	v_add_f16_e32 v31, v31, v32
	v_fma_f16 v18, v18, v35, -v40
	v_add_f16_e32 v35, v12, v15
	v_sub_f16_e32 v12, v12, v15
	v_fma_f16 v39, v7, s5, v10
	v_fma_f16 v7, v7, s4, v10
	v_add_f16_e32 v10, v29, v15
	v_add_f16_e32 v15, v37, v32
	v_fma_f16 v29, v31, -0.5, v33
	v_add_f16_e32 v31, v6, v13
	v_add_f16_e32 v32, v13, v28
	v_fma_f16 v8, v42, -0.5, v8
	v_fma_f16 v9, v35, -0.5, v9
	v_fma_f16 v35, v12, s5, v29
	v_fma_f16 v12, v12, s4, v29
	v_add_f16_e32 v29, v31, v28
	v_fma_f16 v6, v32, -0.5, v6
	v_sub_f16_e32 v31, v17, v18
	v_fma_f16 v38, v43, s4, v8
	v_fma_f16 v8, v43, s5, v8
	;; [unrolled: 1-line block ×6, first 2 shown]
	v_add_f16_e32 v31, v34, v17
	v_add_f16_e32 v17, v17, v18
	;; [unrolled: 1-line block ×5, first 2 shown]
	v_fma_f16 v17, v17, -0.5, v34
	v_sub_f16_e32 v13, v13, v28
	v_pack_b32_f16 v7, v8, v7
	v_pack_b32_f16 v9, v9, v12
	v_fma_f16 v18, v13, s5, v17
	v_fma_f16 v13, v13, s4, v17
	v_pack_b32_f16 v14, v14, v30
	v_pack_b32_f16 v17, v38, v39
	;; [unrolled: 1-line block ×3, first 2 shown]
	ds_write2_b32 v27, v7, v9 offset0:56 offset1:218
	v_pack_b32_f16 v7, v29, v31
	ds_write2_b32 v0, v14, v8 offset1:162
	v_pack_b32_f16 v8, v33, v35
	ds_write2_b32 v25, v7, v17 offset0:4 offset1:220
	v_pack_b32_f16 v7, v32, v18
	v_pack_b32_f16 v6, v6, v13
	ds_write2_b32 v26, v8, v7 offset0:62 offset1:224
	ds_write_b32 v0, v6 offset:5616
	s_and_saveexec_b64 s[2:3], vcc
	s_cbranch_execz .LBB0_35
; %bb.34:
	v_subrev_u32_e32 v6, 54, v5
	v_cndmask_b32_e32 v6, v6, v16, vcc
	v_lshlrev_b32_e32 v10, 1, v6
	v_lshlrev_b64 v[6:7], 2, v[10:11]
	v_mov_b32_e32 v8, s13
	v_add_co_u32_e32 v6, vcc, s12, v6
	v_addc_co_u32_e32 v7, vcc, v8, v7, vcc
	global_load_dwordx2 v[6:7], v[6:7], off offset:2120
	s_waitcnt vmcnt(0)
	v_mul_f16_sdwa v8, v22, v6 dst_sel:DWORD dst_unused:UNUSED_PAD src0_sel:DWORD src1_sel:WORD_1
	v_mul_f16_sdwa v9, v21, v7 dst_sel:DWORD dst_unused:UNUSED_PAD src0_sel:DWORD src1_sel:WORD_1
	;; [unrolled: 1-line block ×4, first 2 shown]
	v_fma_f16 v8, v24, v6, -v8
	v_fma_f16 v9, v23, v7, -v9
	v_fma_f16 v6, v22, v6, v10
	v_fma_f16 v7, v21, v7, v11
	v_add_f16_e32 v10, v8, v9
	v_sub_f16_e32 v11, v6, v7
	v_add_f16_e32 v12, v20, v8
	v_add_f16_e32 v13, v6, v7
	;; [unrolled: 1-line block ×3, first 2 shown]
	v_sub_f16_e32 v8, v8, v9
	v_fma_f16 v10, v10, -0.5, v20
	v_add_f16_e32 v9, v12, v9
	v_fma_f16 v12, v13, -0.5, v19
	v_add_f16_e32 v6, v6, v7
	v_fma_f16 v7, v11, s4, v10
	v_fma_f16 v10, v11, s5, v10
	;; [unrolled: 1-line block ×4, first 2 shown]
	v_pack_b32_f16 v6, v6, v9
	ds_write_b32 v0, v6 offset:1944
	v_pack_b32_f16 v6, v8, v10
	v_pack_b32_f16 v7, v11, v7
	ds_write_b32 v0, v6 offset:4104
	ds_write_b32 v0, v7 offset:6264
.LBB0_35:
	s_or_b64 exec, exec, s[2:3]
	s_waitcnt lgkmcnt(0)
	s_barrier
	s_and_saveexec_b64 s[2:3], s[0:1]
	s_cbranch_execz .LBB0_37
; %bb.36:
	v_mul_lo_u32 v0, s7, v3
	v_mul_lo_u32 v6, s6, v4
	v_mad_u64_u32 v[3:4], s[0:1], s6, v3, 0
	v_lshl_add_u32 v9, v5, 2, 0
	ds_read2_b32 v[7:8], v9 offset1:162
	v_add3_u32 v4, v4, v6, v0
	v_lshlrev_b64 v[3:4], 2, v[3:4]
	v_mov_b32_e32 v0, s11
	v_add_co_u32_e32 v3, vcc, s10, v3
	v_addc_co_u32_e32 v4, vcc, v0, v4, vcc
	v_lshlrev_b64 v[0:1], 2, v[1:2]
	v_mov_b32_e32 v6, 0
	v_add_co_u32_e32 v10, vcc, v3, v0
	v_addc_co_u32_e32 v4, vcc, v4, v1, vcc
	v_lshlrev_b64 v[0:1], 2, v[5:6]
	v_add_u32_e32 v2, 0x400, v9
	v_add_co_u32_e32 v0, vcc, v10, v0
	v_addc_co_u32_e32 v1, vcc, v4, v1, vcc
	s_waitcnt lgkmcnt(0)
	global_store_dword v[0:1], v7, off
	v_add_u32_e32 v0, 0xa2, v5
	v_mov_b32_e32 v1, v6
	v_lshlrev_b64 v[0:1], 2, v[0:1]
	ds_read2_b32 v[2:3], v2 offset0:68 offset1:230
	v_add_co_u32_e32 v0, vcc, v10, v0
	v_addc_co_u32_e32 v1, vcc, v4, v1, vcc
	global_store_dword v[0:1], v8, off
	v_add_u32_e32 v0, 0x144, v5
	v_mov_b32_e32 v1, v6
	v_lshlrev_b64 v[0:1], 2, v[0:1]
	v_add_co_u32_e32 v0, vcc, v10, v0
	v_addc_co_u32_e32 v1, vcc, v4, v1, vcc
	s_waitcnt lgkmcnt(0)
	global_store_dword v[0:1], v2, off
	v_add_u32_e32 v0, 0x1e6, v5
	v_mov_b32_e32 v1, v6
	v_lshlrev_b64 v[0:1], 2, v[0:1]
	v_add_u32_e32 v2, 0xa00, v9
	v_add_co_u32_e32 v0, vcc, v10, v0
	v_addc_co_u32_e32 v1, vcc, v4, v1, vcc
	global_store_dword v[0:1], v3, off
	v_add_u32_e32 v0, 0x288, v5
	v_mov_b32_e32 v1, v6
	ds_read2_b32 v[2:3], v2 offset0:8 offset1:170
	v_lshlrev_b64 v[0:1], 2, v[0:1]
	v_add_co_u32_e32 v0, vcc, v10, v0
	v_addc_co_u32_e32 v1, vcc, v4, v1, vcc
	s_waitcnt lgkmcnt(0)
	global_store_dword v[0:1], v2, off
	v_add_u32_e32 v0, 0x32a, v5
	v_mov_b32_e32 v1, v6
	v_lshlrev_b64 v[0:1], 2, v[0:1]
	v_add_u32_e32 v2, 0xe00, v9
	v_add_co_u32_e32 v0, vcc, v10, v0
	v_addc_co_u32_e32 v1, vcc, v4, v1, vcc
	global_store_dword v[0:1], v3, off
	v_add_u32_e32 v0, 0x3cc, v5
	v_mov_b32_e32 v1, v6
	ds_read2_b32 v[2:3], v2 offset0:76 offset1:238
	;; [unrolled: 15-line block ×3, first 2 shown]
	v_lshlrev_b64 v[0:1], 2, v[0:1]
	v_add_u32_e32 v5, 0x5b2, v5
	v_add_co_u32_e32 v0, vcc, v10, v0
	v_addc_co_u32_e32 v1, vcc, v4, v1, vcc
	s_waitcnt lgkmcnt(0)
	global_store_dword v[0:1], v2, off
	v_lshlrev_b64 v[0:1], 2, v[5:6]
	v_add_co_u32_e32 v0, vcc, v10, v0
	v_addc_co_u32_e32 v1, vcc, v4, v1, vcc
	global_store_dword v[0:1], v3, off
.LBB0_37:
	s_endpgm
	.section	.rodata,"a",@progbits
	.p2align	6, 0x0
	.amdhsa_kernel fft_rtc_back_len1620_factors_10_3_3_6_3_wgs_162_tpt_162_halfLds_half_op_CI_CI_unitstride_sbrr_C2R_dirReg
		.amdhsa_group_segment_fixed_size 0
		.amdhsa_private_segment_fixed_size 0
		.amdhsa_kernarg_size 104
		.amdhsa_user_sgpr_count 6
		.amdhsa_user_sgpr_private_segment_buffer 1
		.amdhsa_user_sgpr_dispatch_ptr 0
		.amdhsa_user_sgpr_queue_ptr 0
		.amdhsa_user_sgpr_kernarg_segment_ptr 1
		.amdhsa_user_sgpr_dispatch_id 0
		.amdhsa_user_sgpr_flat_scratch_init 0
		.amdhsa_user_sgpr_private_segment_size 0
		.amdhsa_uses_dynamic_stack 0
		.amdhsa_system_sgpr_private_segment_wavefront_offset 0
		.amdhsa_system_sgpr_workgroup_id_x 1
		.amdhsa_system_sgpr_workgroup_id_y 0
		.amdhsa_system_sgpr_workgroup_id_z 0
		.amdhsa_system_sgpr_workgroup_info 0
		.amdhsa_system_vgpr_workitem_id 0
		.amdhsa_next_free_vgpr 50
		.amdhsa_next_free_sgpr 28
		.amdhsa_reserve_vcc 1
		.amdhsa_reserve_flat_scratch 0
		.amdhsa_float_round_mode_32 0
		.amdhsa_float_round_mode_16_64 0
		.amdhsa_float_denorm_mode_32 3
		.amdhsa_float_denorm_mode_16_64 3
		.amdhsa_dx10_clamp 1
		.amdhsa_ieee_mode 1
		.amdhsa_fp16_overflow 0
		.amdhsa_exception_fp_ieee_invalid_op 0
		.amdhsa_exception_fp_denorm_src 0
		.amdhsa_exception_fp_ieee_div_zero 0
		.amdhsa_exception_fp_ieee_overflow 0
		.amdhsa_exception_fp_ieee_underflow 0
		.amdhsa_exception_fp_ieee_inexact 0
		.amdhsa_exception_int_div_zero 0
	.end_amdhsa_kernel
	.text
.Lfunc_end0:
	.size	fft_rtc_back_len1620_factors_10_3_3_6_3_wgs_162_tpt_162_halfLds_half_op_CI_CI_unitstride_sbrr_C2R_dirReg, .Lfunc_end0-fft_rtc_back_len1620_factors_10_3_3_6_3_wgs_162_tpt_162_halfLds_half_op_CI_CI_unitstride_sbrr_C2R_dirReg
                                        ; -- End function
	.section	.AMDGPU.csdata,"",@progbits
; Kernel info:
; codeLenInByte = 9252
; NumSgprs: 32
; NumVgprs: 50
; ScratchSize: 0
; MemoryBound: 0
; FloatMode: 240
; IeeeMode: 1
; LDSByteSize: 0 bytes/workgroup (compile time only)
; SGPRBlocks: 3
; VGPRBlocks: 12
; NumSGPRsForWavesPerEU: 32
; NumVGPRsForWavesPerEU: 50
; Occupancy: 4
; WaveLimiterHint : 1
; COMPUTE_PGM_RSRC2:SCRATCH_EN: 0
; COMPUTE_PGM_RSRC2:USER_SGPR: 6
; COMPUTE_PGM_RSRC2:TRAP_HANDLER: 0
; COMPUTE_PGM_RSRC2:TGID_X_EN: 1
; COMPUTE_PGM_RSRC2:TGID_Y_EN: 0
; COMPUTE_PGM_RSRC2:TGID_Z_EN: 0
; COMPUTE_PGM_RSRC2:TIDIG_COMP_CNT: 0
	.type	__hip_cuid_f432229c9709d88,@object ; @__hip_cuid_f432229c9709d88
	.section	.bss,"aw",@nobits
	.globl	__hip_cuid_f432229c9709d88
__hip_cuid_f432229c9709d88:
	.byte	0                               ; 0x0
	.size	__hip_cuid_f432229c9709d88, 1

	.ident	"AMD clang version 19.0.0git (https://github.com/RadeonOpenCompute/llvm-project roc-6.4.0 25133 c7fe45cf4b819c5991fe208aaa96edf142730f1d)"
	.section	".note.GNU-stack","",@progbits
	.addrsig
	.addrsig_sym __hip_cuid_f432229c9709d88
	.amdgpu_metadata
---
amdhsa.kernels:
  - .args:
      - .actual_access:  read_only
        .address_space:  global
        .offset:         0
        .size:           8
        .value_kind:     global_buffer
      - .offset:         8
        .size:           8
        .value_kind:     by_value
      - .actual_access:  read_only
        .address_space:  global
        .offset:         16
        .size:           8
        .value_kind:     global_buffer
      - .actual_access:  read_only
        .address_space:  global
        .offset:         24
        .size:           8
        .value_kind:     global_buffer
      - .actual_access:  read_only
        .address_space:  global
        .offset:         32
        .size:           8
        .value_kind:     global_buffer
      - .offset:         40
        .size:           8
        .value_kind:     by_value
      - .actual_access:  read_only
        .address_space:  global
        .offset:         48
        .size:           8
        .value_kind:     global_buffer
      - .actual_access:  read_only
        .address_space:  global
        .offset:         56
        .size:           8
        .value_kind:     global_buffer
      - .offset:         64
        .size:           4
        .value_kind:     by_value
      - .actual_access:  read_only
        .address_space:  global
        .offset:         72
        .size:           8
        .value_kind:     global_buffer
      - .actual_access:  read_only
        .address_space:  global
        .offset:         80
        .size:           8
        .value_kind:     global_buffer
      - .actual_access:  read_only
        .address_space:  global
        .offset:         88
        .size:           8
        .value_kind:     global_buffer
      - .actual_access:  write_only
        .address_space:  global
        .offset:         96
        .size:           8
        .value_kind:     global_buffer
    .group_segment_fixed_size: 0
    .kernarg_segment_align: 8
    .kernarg_segment_size: 104
    .language:       OpenCL C
    .language_version:
      - 2
      - 0
    .max_flat_workgroup_size: 162
    .name:           fft_rtc_back_len1620_factors_10_3_3_6_3_wgs_162_tpt_162_halfLds_half_op_CI_CI_unitstride_sbrr_C2R_dirReg
    .private_segment_fixed_size: 0
    .sgpr_count:     32
    .sgpr_spill_count: 0
    .symbol:         fft_rtc_back_len1620_factors_10_3_3_6_3_wgs_162_tpt_162_halfLds_half_op_CI_CI_unitstride_sbrr_C2R_dirReg.kd
    .uniform_work_group_size: 1
    .uses_dynamic_stack: false
    .vgpr_count:     50
    .vgpr_spill_count: 0
    .wavefront_size: 64
amdhsa.target:   amdgcn-amd-amdhsa--gfx906
amdhsa.version:
  - 1
  - 2
...

	.end_amdgpu_metadata
